;; amdgpu-corpus repo=ROCm/rocm-examples kind=compiled arch=gfx90a opt=O3
	.text
	.amdgcn_target "amdgcn-amd-amdhsa--gfx90a"
	.amdhsa_code_object_version 6
	.protected	_Z14gemm_rocwmma_djjjPKdS0_S0_Pdjjjjdd ; -- Begin function _Z14gemm_rocwmma_djjjPKdS0_S0_Pdjjjjdd
	.globl	_Z14gemm_rocwmma_djjjPKdS0_S0_Pdjjjjdd
	.p2align	8
	.type	_Z14gemm_rocwmma_djjjPKdS0_S0_Pdjjjjdd,@function
_Z14gemm_rocwmma_djjjPKdS0_S0_Pdjjjjdd: ; @_Z14gemm_rocwmma_djjjPKdS0_S0_Pdjjjjdd
; %bb.0:
	s_load_dwordx4 s[16:19], s[4:5], 0x0
	v_and_b32_e32 v2, 0x3ff, v0
	v_bfe_u32 v3, v0, 10, 10
	v_lshrrev_b32_e32 v36, 1, v2
	v_and_b32_e32 v1, 0x60, v36
	v_lshlrev_b32_e32 v0, 5, v3
	s_lshl_b32 s6, s6, 6
	s_lshl_b32 s20, s7, 6
	v_add_u32_e32 v53, s6, v1
	v_add_u32_e32 v54, s20, v0
	v_add_u32_e32 v4, 32, v53
	v_add_u32_e32 v5, 32, v54
	s_waitcnt lgkmcnt(0)
	v_cmp_ge_u32_e32 vcc, s16, v4
	v_cmp_ge_u32_e64 s[0:1], s17, v5
	s_and_b64 s[0:1], vcc, s[0:1]
	s_and_saveexec_b64 s[2:3], s[0:1]
	s_cbranch_execz .LBB0_5
; %bb.1:
	s_load_dwordx8 s[8:15], s[4:5], 0x10
	s_load_dwordx4 s[0:3], s[4:5], 0x30
	v_lshrrev_b32_e32 v4, 5, v2
	s_mov_b32 s7, 0
	v_and_b32_e32 v4, 30, v4
	s_lshl_b64 s[16:17], s[6:7], 3
	v_add_u32_e32 v25, v4, v3
	v_lshlrev_b32_e32 v62, 2, v2
	v_bfe_u32 v3, v2, 4, 2
	s_waitcnt lgkmcnt(0)
	s_add_u32 s19, s8, s16
	v_and_b32_e32 v24, 60, v62
	v_lshl_or_b32 v3, v25, 2, v3
	s_addc_u32 s21, s9, s17
	v_mad_u64_u32 v[4:5], s[16:17], v3, s0, v[24:25]
	v_mov_b32_e32 v5, 0
	v_lshlrev_b64 v[32:33], 3, v[4:5]
	v_mov_b32_e32 v4, s21
	s_mov_b32 s21, s7
	v_add_co_u32_e32 v6, vcc, s19, v32
	s_lshl_b64 s[16:17], s[20:21], 3
	v_addc_co_u32_e32 v7, vcc, v4, v33, vcc
	s_add_u32 s19, s10, s16
	global_load_dwordx4 v[38:41], v[6:7], off
	global_load_dwordx4 v[42:45], v[6:7], off offset:16
	s_addc_u32 s21, s11, s17
	v_mad_u64_u32 v[6:7], s[16:17], v3, s1, v[24:25]
	v_mov_b32_e32 v7, v5
	v_lshlrev_b64 v[34:35], 3, v[6:7]
	v_mov_b32_e32 v3, s21
	v_add_co_u32_e32 v4, vcc, s19, v34
	v_addc_co_u32_e32 v5, vcc, v3, v35, vcc
	global_load_dwordx4 v[46:49], v[4:5], off offset:16
	global_load_dwordx4 v[56:59], v[4:5], off
	v_lshlrev_b32_e32 v4, 1, v2
	v_lshlrev_b32_e32 v3, 3, v2
	;; [unrolled: 1-line block ×3, first 2 shown]
	s_movk_i32 s16, 0x600
	v_and_b32_e32 v52, 30, v4
	v_and_b32_e32 v50, 0x180, v3
	v_and_or_b32 v37, v37, s16, v52
	v_lshlrev_b32_e32 v25, 9, v25
	v_lshlrev_b32_e32 v71, 3, v37
	v_or3_b32 v37, v25, v50, v24
	v_pk_mov_b32 v[6:7], 0, 0
	v_lshl_add_u32 v24, v37, 3, 0
	v_lshlrev_b32_e32 v70, 3, v1
	v_lshlrev_b32_e32 v55, 3, v0
	v_pk_mov_b32 v[4:5], v[6:7], v[6:7] op_sel:[0,1]
	v_pk_mov_b32 v[2:3], v[6:7], v[6:7] op_sel:[0,1]
	;; [unrolled: 1-line block ×14, first 2 shown]
	s_cmp_lt_u32 s18, 17
	s_waitcnt vmcnt(2)
	ds_write_b128 v24, v[42:45] offset:16
	ds_write_b128 v24, v[38:41]
	s_waitcnt vmcnt(1)
	ds_write_b128 v24, v[46:49] offset:528
	s_waitcnt vmcnt(0)
	ds_write_b128 v24, v[56:59] offset:512
	v_pk_mov_b32 v[24:25], v[6:7], v[6:7] op_sel:[0,1]
	s_waitcnt lgkmcnt(0)
	s_barrier
	s_cbranch_scc1 .LBB0_4
; %bb.2:
	v_mov_b32_e32 v0, s9
	v_add_co_u32_e32 v32, vcc, s8, v32
	v_addc_co_u32_e32 v33, vcc, v0, v33, vcc
	s_lshl_b32 s16, s0, 4
	s_lshl_b32 s17, s1, 4
	v_mov_b32_e32 v0, s11
	v_add_co_u32_e32 v34, vcc, s10, v34
	s_mov_b32 s1, 0
	v_pk_mov_b32 v[24:25], 0, 0
	v_addc_co_u32_e32 v35, vcc, v0, v35, vcc
	s_add_i32 s0, s6, s16
	s_add_i32 s6, 0, 0x4000
	;; [unrolled: 1-line block ×3, first 2 shown]
	s_mov_b32 s19, 16
	s_mov_b32 s9, s1
	v_pk_mov_b32 v[26:27], v[24:25], v[24:25] op_sel:[0,1]
	v_pk_mov_b32 v[28:29], v[24:25], v[24:25] op_sel:[0,1]
	;; [unrolled: 1-line block ×15, first 2 shown]
.LBB0_3:                                ; =>This Inner Loop Header: Depth=1
	v_accvgpr_write_b32 a31, v7
	s_lshl_b64 s[10:11], s[0:1], 3
	v_accvgpr_write_b32 a30, v6
	v_accvgpr_write_b32 a29, v5
	;; [unrolled: 1-line block ×7, first 2 shown]
	s_mov_b32 s7, s6
	s_mov_b32 s6, s9
	;; [unrolled: 1-line block ×3, first 2 shown]
	v_mov_b32_e32 v1, s11
	v_add_co_u32_e32 v0, vcc, s10, v32
	s_lshl_b64 s[20:21], s[8:9], 3
	v_addc_co_u32_e32 v1, vcc, v33, v1, vcc
	v_mov_b32_e32 v3, s21
	v_add_co_u32_e32 v2, vcc, s20, v34
	v_addc_co_u32_e32 v3, vcc, v35, v3, vcc
	global_load_dwordx4 v[38:41], v[0:1], off
	global_load_dwordx4 v[42:45], v[0:1], off offset:16
	global_load_dwordx4 v[46:49], v[2:3], off offset:16
	global_load_dwordx4 v[56:59], v[2:3], off
	v_accvgpr_write_b32 a0, v24
	v_accvgpr_write_b32 a23, v15
	;; [unrolled: 1-line block ×17, first 2 shown]
	v_add3_u32 v12, s6, v70, v71
	v_add3_u32 v28, s6, v55, v71
	v_accvgpr_write_b32 a9, v17
	v_accvgpr_write_b32 a10, v18
	;; [unrolled: 1-line block ×7, first 2 shown]
	ds_read_b128 v[0:3], v12
	ds_read_b128 v[4:7], v12 offset:1024
	ds_read_b128 v[8:11], v12 offset:2048
	;; [unrolled: 1-line block ×7, first 2 shown]
	s_add_i32 s19, s19, 16
	s_waitcnt lgkmcnt(3)
	v_mfma_f64_16x16x4f64 a[0:7], v[0:1], v[16:17], a[0:7]
	v_mfma_f64_16x16x4f64 a[8:15], v[0:1], v[18:19], a[8:15]
	s_add_i32 s0, s0, s16
	v_mfma_f64_16x16x4f64 a[16:23], v[2:3], v[16:17], a[16:23]
	s_add_i32 s8, s8, s17
	s_mov_b32 s9, s7
	s_cmp_ge_u32 s19, s18
	v_lshl_add_u32 v50, v37, 3, s7
	s_waitcnt vmcnt(2)
	ds_write_b128 v50, v[42:45] offset:16
	ds_write_b128 v50, v[38:41]
	s_waitcnt vmcnt(1)
	ds_write_b128 v50, v[46:49] offset:528
	s_waitcnt vmcnt(0)
	ds_write_b128 v50, v[56:59] offset:512
	v_mfma_f64_16x16x4f64 a[24:31], v[2:3], v[18:19], a[24:31]
	s_waitcnt lgkmcnt(6)
	v_mfma_f64_16x16x4f64 a[0:7], v[4:5], v[20:21], a[0:7]
	v_mfma_f64_16x16x4f64 a[8:15], v[4:5], v[22:23], a[8:15]
	v_mfma_f64_16x16x4f64 a[16:23], v[6:7], v[20:21], a[16:23]
	s_waitcnt lgkmcnt(0)
	s_barrier
	v_mfma_f64_16x16x4f64 a[24:31], v[6:7], v[22:23], a[24:31]
	v_mfma_f64_16x16x4f64 a[0:7], v[8:9], v[24:25], a[0:7]
	;; [unrolled: 1-line block ×9, first 2 shown]
	s_nop 7
	v_accvgpr_read_b32 v25, a1
	v_accvgpr_read_b32 v24, a0
	;; [unrolled: 1-line block ×32, first 2 shown]
	s_cbranch_scc0 .LBB0_3
.LBB0_4:
	v_mad_u64_u32 v[56:57], s[0:1], v53, s2, v[54:55]
	v_mov_b32_e32 v57, 0
	v_lshlrev_b64 v[32:33], 3, v[56:57]
	v_mov_b32_e32 v34, s13
	v_add_co_u32_e32 v58, vcc, s12, v32
	v_and_b32_e32 v72, 24, v36
	v_addc_co_u32_e32 v59, vcc, v34, v33, vcc
	v_mad_u64_u32 v[32:33], s[0:1], v72, s2, v[52:53]
	v_mov_b32_e32 v33, v57
	v_lshlrev_b64 v[34:35], 3, v[32:33]
	v_add_co_u32_e32 v34, vcc, v58, v34
	v_add_u32_e32 v56, s2, v32
	v_addc_co_u32_e32 v35, vcc, v59, v35, vcc
	v_lshlrev_b64 v[32:33], 3, v[56:57]
	v_add_u32_e32 v56, s2, v56
	global_load_dwordx4 v[64:67], v[34:35], off
	v_lshlrev_b64 v[34:35], 3, v[56:57]
	v_add_co_u32_e32 v34, vcc, v58, v34
	v_addc_co_u32_e32 v35, vcc, v59, v35, vcc
	v_add_u32_e32 v56, s2, v56
	global_load_dwordx4 v[74:77], v[34:35], off
	v_lshlrev_b64 v[34:35], 3, v[56:57]
	v_add_u32_e32 v56, s2, v56
	v_lshlrev_b64 v[36:37], 3, v[56:57]
	v_add_u32_e32 v56, s2, v56
	v_add_co_u32_e32 v36, vcc, v58, v36
	v_lshlrev_b64 v[48:49], 3, v[56:57]
	v_add_u32_e32 v56, s2, v56
	v_addc_co_u32_e32 v37, vcc, v59, v37, vcc
	v_lshlrev_b64 v[38:39], 3, v[56:57]
	global_load_dwordx4 v[78:81], v[36:37], off
	v_add_co_u32_e32 v36, vcc, v58, v38
	v_addc_co_u32_e32 v37, vcc, v59, v39, vcc
	global_load_dwordx4 v[36:39], v[36:37], off
	v_add_co_u32_e32 v32, vcc, v58, v32
	v_addc_co_u32_e32 v33, vcc, v59, v33, vcc
	;; [unrolled: 3-line block ×3, first 2 shown]
	global_load_dwordx4 v[40:43], v[32:33], off
	v_add_u32_e32 v56, s2, v56
	v_add_co_u32_e32 v32, vcc, v58, v48
	v_addc_co_u32_e32 v33, vcc, v59, v49, vcc
	v_lshlrev_b64 v[34:35], 3, v[56:57]
	global_load_dwordx4 v[48:51], v[32:33], off
	v_add_co_u32_e32 v32, vcc, v58, v34
	v_addc_co_u32_e32 v33, vcc, v59, v35, vcc
	global_load_dwordx4 v[32:35], v[32:33], off
	v_accvgpr_write_b32 a0, v24
	v_accvgpr_write_b32 a1, v25
	;; [unrolled: 1-line block ×32, first 2 shown]
	s_waitcnt vmcnt(7)
	ds_swizzle_b32 v56, v64 offset:50688
	ds_swizzle_b32 v68, v66 offset:50688
	;; [unrolled: 1-line block ×4, first 2 shown]
	s_waitcnt vmcnt(6)
	ds_swizzle_b32 v73, v74 offset:50688
	s_waitcnt lgkmcnt(4)
	v_mov_b32_dpp v74, v56 quad_perm:[0,1,2,3] row_mask:0x5 bank_mask:0xf
	v_and_b32_e32 v56, 0xfc, v62
	ds_swizzle_b32 v83, v76 offset:50688
	v_xor_b32_e32 v56, 0x80, v56
	ds_swizzle_b32 v84, v77 offset:50688
	s_waitcnt lgkmcnt(5)
	v_mov_b32_dpp v76, v68 quad_perm:[0,1,2,3] row_mask:0x5 bank_mask:0xf
	ds_swizzle_b32 v82, v75 offset:50688
	s_waitcnt lgkmcnt(3)
	v_mov_b32_dpp v73, v64 quad_perm:[0,1,2,3] row_mask:0x5 bank_mask:0xf
	s_waitcnt lgkmcnt(2)
	v_mov_b32_dpp v83, v66 quad_perm:[0,1,2,3] row_mask:0x5 bank_mask:0xf
	;; [unrolled: 2-line block ×3, first 2 shown]
	ds_permute_b32 v66, v56, v74
	s_waitcnt vmcnt(5)
	ds_swizzle_b32 v85, v78 offset:50688
	ds_swizzle_b32 v86, v79 offset:50688
	;; [unrolled: 1-line block ×3, first 2 shown]
	ds_permute_b32 v67, v56, v73
	s_waitcnt lgkmcnt(5)
	v_mov_b32_dpp v82, v65 quad_perm:[0,1,2,3] row_mask:0x5 bank_mask:0xf
	s_waitcnt vmcnt(4)
	ds_swizzle_b32 v60, v36 offset:50688
	ds_swizzle_b32 v61, v37 offset:50688
	;; [unrolled: 1-line block ×3, first 2 shown]
	s_waitcnt lgkmcnt(6)
	v_mov_b32_dpp v36, v85 quad_perm:[0,1,2,3] row_mask:0x5 bank_mask:0xf
	s_waitcnt lgkmcnt(5)
	v_mov_b32_dpp v37, v86 quad_perm:[0,1,2,3] row_mask:0x5 bank_mask:0xf
	;; [unrolled: 2-line block ×3, first 2 shown]
	ds_permute_b32 v68, v56, v60
	s_waitcnt lgkmcnt(2)
	v_mov_b32_dpp v61, v79 quad_perm:[0,1,2,3] row_mask:0x5 bank_mask:0xf
	v_mov_b32_dpp v38, v87 quad_perm:[0,1,2,3] row_mask:0x5 bank_mask:0xf
	ds_permute_b32 v64, v56, v36
	ds_permute_b32 v65, v56, v37
	s_waitcnt lgkmcnt(2)
	v_mov_b32_dpp v68, v73 quad_perm:[0,1,2,3] row_mask:0x3 bank_mask:0xf
	ds_permute_b32 v73, v56, v83
	ds_permute_b32 v62, v56, v38
	v_mov_b32_dpp v77, v69 quad_perm:[0,1,2,3] row_mask:0x5 bank_mask:0xf
	ds_permute_b32 v69, v56, v61
	v_mov_b32_dpp v58, v80 quad_perm:[0,1,2,3] row_mask:0x5 bank_mask:0xf
	s_waitcnt vmcnt(1)
	ds_swizzle_b32 v28, v48 offset:50688
	v_mov_b32_dpp v36, v66 quad_perm:[0,1,2,3] row_mask:0x3 bank_mask:0xf
	ds_permute_b32 v66, v56, v58
	s_waitcnt lgkmcnt(4)
	v_mov_b32_dpp v58, v73 quad_perm:[0,1,2,3] row_mask:0x3 bank_mask:0xf
	ds_swizzle_b32 v29, v40 offset:50688
	s_waitcnt vmcnt(0)
	ds_swizzle_b32 v24, v32 offset:50688
	ds_swizzle_b32 v73, v41 offset:50688
	;; [unrolled: 1-line block ×3, first 2 shown]
	v_mov_b32_dpp v75, v63 quad_perm:[0,1,2,3] row_mask:0x5 bank_mask:0xf
	ds_swizzle_b32 v26, v44 offset:50688
	s_waitcnt lgkmcnt(3)
	v_mov_b32_dpp v24, v48 quad_perm:[0,1,2,3] row_mask:0x5 bank_mask:0xf
	ds_swizzle_b32 v27, v45 offset:50688
	ds_permute_b32 v30, v56, v24
	v_mov_b32_dpp v64, v74 quad_perm:[0,1,2,3] row_mask:0x3 bank_mask:0xf
	v_mov_b32_dpp v65, v75 quad_perm:[0,1,2,3] row_mask:0x3 bank_mask:0xf
	;; [unrolled: 1-line block ×3, first 2 shown]
	ds_permute_b32 v74, v56, v75
	ds_permute_b32 v75, v56, v76
	;; [unrolled: 1-line block ×3, first 2 shown]
	v_mov_b32_dpp v69, v82 quad_perm:[0,1,2,3] row_mask:0x3 bank_mask:0xf
	ds_swizzle_b32 v82, v42 offset:50688
	v_mov_b32_dpp v32, v28 quad_perm:[0,1,2,3] row_mask:0x5 bank_mask:0xf
	ds_swizzle_b32 v25, v33 offset:50688
	v_mov_b32_dpp v29, v44 quad_perm:[0,1,2,3] row_mask:0x5 bank_mask:0xf
	s_waitcnt lgkmcnt(9)
	v_mov_b32_dpp v73, v45 quad_perm:[0,1,2,3] row_mask:0x5 bank_mask:0xf
	s_waitcnt lgkmcnt(8)
	v_mov_b32_dpp v33, v31 quad_perm:[0,1,2,3] row_mask:0x5 bank_mask:0xf
	ds_permute_b32 v28, v56, v32
	s_waitcnt lgkmcnt(8)
	v_mov_b32_dpp v40, v26 quad_perm:[0,1,2,3] row_mask:0x5 bank_mask:0xf
	s_waitcnt lgkmcnt(7)
	v_mov_b32_dpp v41, v27 quad_perm:[0,1,2,3] row_mask:0x5 bank_mask:0xf
	ds_permute_b32 v26, v56, v29
	ds_permute_b32 v27, v56, v73
	s_waitcnt lgkmcnt(8)
	v_mov_b32_dpp v30, v29 quad_perm:[0,1,2,3] row_mask:0x3 bank_mask:0xf
	ds_permute_b32 v29, v56, v33
	ds_swizzle_b32 v90, v43 offset:50688
	ds_swizzle_b32 v44, v46 offset:50688
	s_waitcnt lgkmcnt(7)
	v_mov_b32_dpp v82, v46 quad_perm:[0,1,2,3] row_mask:0x5 bank_mask:0xf
	ds_permute_b32 v45, v56, v40
	ds_permute_b32 v46, v56, v41
	ds_swizzle_b32 v88, v81 offset:50688
	s_waitcnt lgkmcnt(9)
	v_mov_b32_dpp v25, v49 quad_perm:[0,1,2,3] row_mask:0x5 bank_mask:0xf
	s_waitcnt lgkmcnt(8)
	v_mov_b32_dpp v28, v40 quad_perm:[0,1,2,3] row_mask:0x3 bank_mask:0xf
	ds_swizzle_b32 v40, v47 offset:50688
	ds_permute_b32 v31, v56, v25
	s_waitcnt lgkmcnt(9)
	v_mov_b32_dpp v24, v26 quad_perm:[0,1,2,3] row_mask:0x3 bank_mask:0xf
	s_waitcnt lgkmcnt(8)
	v_mov_b32_dpp v25, v27 quad_perm:[0,1,2,3] row_mask:0x3 bank_mask:0xf
	ds_swizzle_b32 v26, v34 offset:50688
	ds_swizzle_b32 v27, v35 offset:50688
	s_waitcnt lgkmcnt(9)
	v_mov_b32_dpp v29, v41 quad_perm:[0,1,2,3] row_mask:0x3 bank_mask:0xf
	v_add3_u32 v41, s7, v70, v71
	s_waitcnt lgkmcnt(8)
	v_mov_b32_dpp v90, v47 quad_perm:[0,1,2,3] row_mask:0x5 bank_mask:0xf
	s_waitcnt lgkmcnt(6)
	v_mov_b32_dpp v32, v45 quad_perm:[0,1,2,3] row_mask:0x3 bank_mask:0xf
	;; [unrolled: 2-line block ×3, first 2 shown]
	v_mov_b32_dpp v42, v44 quad_perm:[0,1,2,3] row_mask:0x5 bank_mask:0xf
	ds_read_b128 v[44:47], v41
	ds_swizzle_b32 v59, v39 offset:50688
	s_waitcnt lgkmcnt(6)
	v_mov_b32_dpp v39, v88 quad_perm:[0,1,2,3] row_mask:0x5 bank_mask:0xf
	ds_permute_b32 v63, v56, v39
	s_waitcnt lgkmcnt(6)
	v_mov_b32_dpp v43, v40 quad_perm:[0,1,2,3] row_mask:0x5 bank_mask:0xf
	v_add3_u32 v40, s7, v55, v71
	s_waitcnt lgkmcnt(5)
	v_mov_b32_dpp v31, v73 quad_perm:[0,1,2,3] row_mask:0x3 bank_mask:0xf
	s_waitcnt lgkmcnt(4)
	v_mov_b32_dpp v26, v50 quad_perm:[0,1,2,3] row_mask:0x5 bank_mask:0xf
	;; [unrolled: 2-line block ×3, first 2 shown]
	ds_swizzle_b32 v70, v50 offset:50688
	ds_swizzle_b32 v73, v51 offset:50688
	ds_read_b128 v[48:51], v40 offset:512
	s_waitcnt lgkmcnt(3)
	v_mov_b32_dpp v63, v77 quad_perm:[0,1,2,3] row_mask:0x3 bank_mask:0xf
	ds_permute_b32 v77, v56, v77
	v_mov_b32_dpp v61, v76 quad_perm:[0,1,2,3] row_mask:0x3 bank_mask:0xf
	ds_permute_b32 v76, v56, v84
	s_waitcnt lgkmcnt(2)
	v_mfma_f64_16x16x4f64 a[0:7], v[44:45], v[48:49], a[0:7]
	v_mov_b32_dpp v59, v81 quad_perm:[0,1,2,3] row_mask:0x5 bank_mask:0xf
	v_mov_b32_dpp v60, v67 quad_perm:[0,1,2,3] row_mask:0x3 bank_mask:0xf
	ds_permute_b32 v67, v56, v59
	v_mov_b32_dpp v37, v74 quad_perm:[0,1,2,3] row_mask:0x3 bank_mask:0xf
	s_waitcnt lgkmcnt(1)
	v_mov_b32_dpp v59, v76 quad_perm:[0,1,2,3] row_mask:0x3 bank_mask:0xf
	v_mov_b32_dpp v38, v75 quad_perm:[0,1,2,3] row_mask:0x3 bank_mask:0xf
	;; [unrolled: 1-line block ×3, first 2 shown]
	ds_read_b128 v[74:77], v41 offset:1024
	ds_read_b128 v[78:81], v40 offset:1536
	v_mfma_f64_16x16x4f64 a[8:15], v[44:45], v[50:51], a[8:15]
	ds_read_b128 v[8:11], v41 offset:2048
	ds_read_b128 v[18:21], v40 offset:2560
	v_mfma_f64_16x16x4f64 a[16:23], v[46:47], v[48:49], a[16:23]
	s_waitcnt lgkmcnt(2)
	v_mfma_f64_16x16x4f64 a[0:7], v[74:75], v[78:79], a[0:7]
	v_mfma_f64_16x16x4f64 a[24:31], v[46:47], v[50:51], a[24:31]
	ds_permute_b32 v16, v56, v26
	v_mov_b32_dpp v66, v83 quad_perm:[0,1,2,3] row_mask:0x3 bank_mask:0xf
	v_mfma_f64_16x16x4f64 a[8:15], v[74:75], v[80:81], a[8:15]
	v_mov_b32_dpp v67, v84 quad_perm:[0,1,2,3] row_mask:0x3 bank_mask:0xf
	ds_permute_b32 v55, v56, v82
	v_mfma_f64_16x16x4f64 a[16:23], v[76:77], v[78:79], a[16:23]
	s_waitcnt lgkmcnt(2)
	v_mfma_f64_16x16x4f64 a[0:7], v[8:9], v[18:19], a[0:7]
	s_waitcnt lgkmcnt(1)
	v_mov_b32_dpp v16, v82 quad_perm:[0,1,2,3] row_mask:0x3 bank_mask:0xf
	ds_read_b128 v[82:85], v41 offset:3072
	ds_read_b128 v[86:89], v40 offset:3584
	v_mfma_f64_16x16x4f64 a[24:31], v[76:77], v[80:81], a[24:31]
	v_mfma_f64_16x16x4f64 a[8:15], v[8:9], v[20:21], a[8:15]
	s_load_dwordx4 s[4:7], s[4:5], 0x40
	v_mov_b32_dpp v34, v70 quad_perm:[0,1,2,3] row_mask:0x5 bank_mask:0xf
	v_mfma_f64_16x16x4f64 a[16:23], v[10:11], v[18:19], a[16:23]
	s_waitcnt lgkmcnt(0)
	v_mfma_f64_16x16x4f64 a[0:7], v[82:83], v[86:87], a[0:7]
	v_mov_b32_dpp v35, v73 quad_perm:[0,1,2,3] row_mask:0x5 bank_mask:0xf
	v_mul_f64 v[18:19], v[68:69], s[6:7]
	v_mfma_f64_16x16x4f64 a[24:31], v[10:11], v[20:21], a[24:31]
	v_mfma_f64_16x16x4f64 a[8:15], v[82:83], v[88:89], a[8:15]
	ds_permute_b32 v22, v56, v34
	ds_permute_b32 v23, v56, v35
	v_mfma_f64_16x16x4f64 a[16:23], v[84:85], v[86:87], a[16:23]
	ds_permute_b32 v71, v56, v42
	ds_permute_b32 v73, v56, v43
	;; [unrolled: 1-line block ×4, first 2 shown]
	v_accvgpr_read_b32 v1, a1
	v_accvgpr_read_b32 v0, a0
	v_fmac_f64_e32 v[18:19], s[4:5], v[0:1]
	ds_swizzle_b32 v44, v18 offset:50688
	ds_swizzle_b32 v45, v19 offset:50688
	v_accvgpr_read_b32 v1, a3
	v_accvgpr_read_b32 v0, a2
	v_mul_f64 v[12:13], v[64:65], s[6:7]
	v_fmac_f64_e32 v[12:13], s[4:5], v[0:1]
	v_accvgpr_read_b32 v1, a5
	v_accvgpr_read_b32 v0, a4
	v_mul_f64 v[40:41], v[60:61], s[6:7]
	v_fmac_f64_e32 v[40:41], s[4:5], v[0:1]
	v_accvgpr_read_b32 v3, a7
	v_accvgpr_read_b32 v2, a6
	v_mul_f64 v[0:1], v[36:37], s[6:7]
	v_fmac_f64_e32 v[0:1], s[4:5], v[2:3]
	v_accvgpr_read_b32 v3, a9
	v_accvgpr_read_b32 v2, a8
	v_mul_f64 v[36:37], v[66:67], s[6:7]
	v_mfma_f64_16x16x4f64 a[24:31], v[84:85], v[88:89], a[24:31]
	ds_swizzle_b32 v46, v40 offset:50688
	v_mul_f64 v[14:15], v[62:63], s[6:7]
	v_fmac_f64_e32 v[36:37], s[4:5], v[2:3]
	ds_swizzle_b32 v47, v37 offset:50688
	v_accvgpr_read_b32 v3, a11
	v_accvgpr_read_b32 v2, a10
	s_waitcnt lgkmcnt(9)
	v_mov_b32_dpp v22, v42 quad_perm:[0,1,2,3] row_mask:0x3 bank_mask:0xf
	s_waitcnt lgkmcnt(8)
	v_mov_b32_dpp v23, v43 quad_perm:[0,1,2,3] row_mask:0x3 bank_mask:0xf
	v_fmac_f64_e32 v[14:15], s[4:5], v[2:3]
	ds_swizzle_b32 v60, v15 offset:50688
	v_accvgpr_read_b32 v3, a13
	v_accvgpr_read_b32 v2, a12
	v_mul_f64 v[42:43], v[58:59], s[6:7]
	ds_swizzle_b32 v59, v14 offset:50688
	v_fmac_f64_e32 v[42:43], s[4:5], v[2:3]
	ds_swizzle_b32 v48, v42 offset:50688
	v_accvgpr_read_b32 v5, a15
	v_accvgpr_read_b32 v4, a14
	v_mul_f64 v[2:3], v[38:39], s[6:7]
	v_fmac_f64_e32 v[2:3], s[4:5], v[4:5]
	ds_swizzle_b32 v11, v3 offset:50688
	v_accvgpr_read_b32 v5, a17
	v_accvgpr_read_b32 v4, a16
	v_mul_f64 v[30:31], v[30:31], s[6:7]
	v_fmac_f64_e32 v[30:31], s[4:5], v[4:5]
	v_accvgpr_read_b32 v5, a19
	v_accvgpr_read_b32 v4, a18
	v_mul_f64 v[38:39], v[28:29], s[6:7]
	ds_swizzle_b32 v28, v41 offset:50688
	v_fmac_f64_e32 v[38:39], s[4:5], v[4:5]
	v_accvgpr_read_b32 v5, a21
	v_accvgpr_read_b32 v4, a20
	v_mul_f64 v[20:21], v[24:25], s[6:7]
	s_waitcnt lgkmcnt(10)
	v_mov_b32_dpp v17, v90 quad_perm:[0,1,2,3] row_mask:0x3 bank_mask:0xf
	v_fmac_f64_e32 v[20:21], s[4:5], v[4:5]
	v_accvgpr_read_b32 v7, a23
	v_accvgpr_read_b32 v6, a22
	v_mul_f64 v[4:5], v[32:33], s[6:7]
	v_fmac_f64_e32 v[4:5], s[4:5], v[6:7]
	v_accvgpr_read_b32 v7, a25
	v_accvgpr_read_b32 v6, a24
	v_mul_f64 v[24:25], v[16:17], s[6:7]
	v_mov_b32_dpp v26, v55 quad_perm:[0,1,2,3] row_mask:0x3 bank_mask:0xf
	s_waitcnt lgkmcnt(9)
	v_mov_b32_dpp v27, v70 quad_perm:[0,1,2,3] row_mask:0x3 bank_mask:0xf
	v_fmac_f64_e32 v[24:25], s[4:5], v[6:7]
	v_accvgpr_read_b32 v7, a27
	v_accvgpr_read_b32 v6, a26
	v_mul_f64 v[32:33], v[22:23], s[6:7]
	v_mov_b32_dpp v34, v71 quad_perm:[0,1,2,3] row_mask:0x3 bank_mask:0xf
	v_mov_b32_dpp v35, v73 quad_perm:[0,1,2,3] row_mask:0x3 bank_mask:0xf
	v_fmac_f64_e32 v[32:33], s[4:5], v[6:7]
	v_accvgpr_read_b32 v7, a29
	v_accvgpr_read_b32 v6, a28
	v_mul_f64 v[22:23], v[26:27], s[6:7]
	v_fmac_f64_e32 v[22:23], s[4:5], v[6:7]
	v_accvgpr_read_b32 v9, a31
	v_accvgpr_read_b32 v8, a30
	v_mul_f64 v[6:7], v[34:35], s[6:7]
	v_fmac_f64_e32 v[6:7], s[4:5], v[8:9]
	v_mad_u64_u32 v[8:9], s[0:1], v53, s3, v[54:55]
	v_mov_b32_e32 v9, v57
	v_lshlrev_b64 v[8:9], 3, v[8:9]
	v_mov_b32_e32 v10, s15
	v_add_co_u32_e32 v49, vcc, s14, v8
	v_addc_co_u32_e32 v50, vcc, v10, v9, vcc
	ds_swizzle_b32 v54, v12 offset:50688
	ds_swizzle_b32 v9, v1 offset:50688
	;; [unrolled: 1-line block ×5, first 2 shown]
	s_waitcnt lgkmcnt(4)
	v_mov_b32_dpp v54, v18 quad_perm:[0,1,2,3] row_mask:0x5 bank_mask:0xf
	s_waitcnt lgkmcnt(3)
	v_mov_b32_dpp v9, v41 quad_perm:[0,1,2,3] row_mask:0x5 bank_mask:0xf
	ds_swizzle_b32 v41, v39 offset:50688
	ds_swizzle_b32 v18, v6 offset:50688
	s_waitcnt lgkmcnt(4)
	v_mov_b32_dpp v8, v40 quad_perm:[0,1,2,3] row_mask:0x5 bank_mask:0xf
	ds_swizzle_b32 v40, v38 offset:50688
	ds_swizzle_b32 v16, v4 offset:50688
	s_waitcnt lgkmcnt(3)
	v_mov_b32_dpp v41, v31 quad_perm:[0,1,2,3] row_mask:0x5 bank_mask:0xf
	ds_swizzle_b32 v31, v32 offset:50688
	s_waitcnt lgkmcnt(3)
	v_mov_b32_dpp v18, v22 quad_perm:[0,1,2,3] row_mask:0x5 bank_mask:0xf
	;; [unrolled: 3-line block ×3, first 2 shown]
	ds_swizzle_b32 v30, v22 offset:50688
	v_mov_b32_dpp v3, v26 quad_perm:[0,1,2,3] row_mask:0x5 bank_mask:0xf
	ds_permute_b32 v26, v56, v18
	ds_swizzle_b32 v29, v36 offset:50688
	ds_swizzle_b32 v35, v20 offset:50688
	;; [unrolled: 1-line block ×4, first 2 shown]
	s_waitcnt lgkmcnt(8)
	v_mov_b32_dpp v16, v20 quad_perm:[0,1,2,3] row_mask:0x5 bank_mask:0xf
	ds_swizzle_b32 v20, v23 offset:50688
	s_waitcnt lgkmcnt(8)
	v_mov_b32_dpp v31, v24 quad_perm:[0,1,2,3] row_mask:0x5 bank_mask:0xf
	v_mov_b32_dpp v2, v48 quad_perm:[0,1,2,3] row_mask:0x5 bank_mask:0xf
	ds_swizzle_b32 v51, v21 offset:50688
	ds_swizzle_b32 v53, v24 offset:50688
	v_mov_b32_dpp v13, v45 quad_perm:[0,1,2,3] row_mask:0x5 bank_mask:0xf
	s_waitcnt lgkmcnt(8)
	v_mov_b32_dpp v6, v30 quad_perm:[0,1,2,3] row_mask:0x5 bank_mask:0xf
	ds_permute_b32 v45, v56, v31
	s_waitcnt lgkmcnt(8)
	v_mov_b32_dpp v26, v31 quad_perm:[0,1,2,3] row_mask:0x3 bank_mask:0xf
	ds_permute_b32 v30, v56, v2
	ds_permute_b32 v31, v56, v3
	ds_swizzle_b32 v58, v25 offset:50688
	s_waitcnt lgkmcnt(8)
	v_mov_b32_dpp v55, v19 quad_perm:[0,1,2,3] row_mask:0x5 bank_mask:0xf
	ds_swizzle_b32 v17, v5 offset:50688
	ds_swizzle_b32 v19, v7 offset:50688
	v_mov_b32_dpp v14, v29 quad_perm:[0,1,2,3] row_mask:0x5 bank_mask:0xf
	v_mov_b32_dpp v15, v47 quad_perm:[0,1,2,3] row_mask:0x5 bank_mask:0xf
	s_waitcnt lgkmcnt(8)
	v_mov_b32_dpp v7, v20 quad_perm:[0,1,2,3] row_mask:0x5 bank_mask:0xf
	s_waitcnt lgkmcnt(7)
	;; [unrolled: 2-line block ×3, first 2 shown]
	v_mov_b32_dpp v32, v53 quad_perm:[0,1,2,3] row_mask:0x5 bank_mask:0xf
	ds_permute_b32 v51, v56, v14
	ds_permute_b32 v53, v56, v15
	;; [unrolled: 1-line block ×4, first 2 shown]
	s_waitcnt lgkmcnt(8)
	v_mov_b32_dpp v30, v14 quad_perm:[0,1,2,3] row_mask:0x3 bank_mask:0xf
	s_waitcnt lgkmcnt(7)
	v_mov_b32_dpp v31, v15 quad_perm:[0,1,2,3] row_mask:0x3 bank_mask:0xf
	ds_permute_b32 v14, v56, v6
	ds_permute_b32 v15, v56, v7
	v_mov_b32_dpp v59, v36 quad_perm:[0,1,2,3] row_mask:0x5 bank_mask:0xf
	ds_swizzle_b32 v36, v33 offset:50688
	v_mov_b32_dpp v39, v34 quad_perm:[0,1,2,3] row_mask:0x5 bank_mask:0xf
	v_mov_b32_dpp v4, v35 quad_perm:[0,1,2,3] row_mask:0x5 bank_mask:0xf
	ds_permute_b32 v34, v56, v54
	ds_permute_b32 v35, v56, v55
	v_mov_b32_dpp v10, v42 quad_perm:[0,1,2,3] row_mask:0x5 bank_mask:0xf
	v_mov_b32_dpp v11, v43 quad_perm:[0,1,2,3] row_mask:0x5 bank_mask:0xf
	;; [unrolled: 1-line block ×4, first 2 shown]
	s_waitcnt lgkmcnt(10)
	v_mov_b32_dpp v17, v21 quad_perm:[0,1,2,3] row_mask:0x5 bank_mask:0xf
	s_waitcnt lgkmcnt(9)
	v_mov_b32_dpp v19, v23 quad_perm:[0,1,2,3] row_mask:0x5 bank_mask:0xf
	v_mov_b32_dpp v33, v58 quad_perm:[0,1,2,3] row_mask:0x5 bank_mask:0xf
	ds_permute_b32 v21, v56, v9
	ds_permute_b32 v22, v56, v10
	;; [unrolled: 1-line block ×6, first 2 shown]
	s_waitcnt lgkmcnt(12)
	v_mov_b32_dpp v20, v54 quad_perm:[0,1,2,3] row_mask:0x3 bank_mask:0xf
	ds_permute_b32 v54, v56, v32
	s_waitcnt lgkmcnt(12)
	v_mov_b32_dpp v24, v40 quad_perm:[0,1,2,3] row_mask:0x3 bank_mask:0xf
	ds_permute_b32 v40, v56, v33
	s_waitcnt lgkmcnt(12)
	v_mov_b32_dpp v14, v32 quad_perm:[0,1,2,3] row_mask:0x3 bank_mask:0xf
	s_waitcnt lgkmcnt(11)
	v_mov_b32_dpp v15, v33 quad_perm:[0,1,2,3] row_mask:0x3 bank_mask:0xf
	v_mad_u64_u32 v[32:33], s[0:1], v72, s3, v[52:53]
	v_mov_b32_e32 v33, v57
	s_waitcnt lgkmcnt(10)
	v_mov_b32_dpp v36, v25 quad_perm:[0,1,2,3] row_mask:0x5 bank_mask:0xf
	v_mov_b32_dpp v38, v27 quad_perm:[0,1,2,3] row_mask:0x5 bank_mask:0xf
	ds_permute_b32 v25, v56, v17
	ds_permute_b32 v27, v56, v19
	s_waitcnt lgkmcnt(11)
	v_mov_b32_dpp v8, v34 quad_perm:[0,1,2,3] row_mask:0x3 bank_mask:0xf
	s_waitcnt lgkmcnt(10)
	v_mov_b32_dpp v9, v35 quad_perm:[0,1,2,3] row_mask:0x3 bank_mask:0xf
	v_lshlrev_b64 v[34:35], 3, v[32:33]
	v_mov_b32_dpp v60, v37 quad_perm:[0,1,2,3] row_mask:0x5 bank_mask:0xf
	v_mov_b32_dpp v12, v44 quad_perm:[0,1,2,3] row_mask:0x5 bank_mask:0xf
	v_add_co_u32_e32 v34, vcc, v49, v34
	ds_permute_b32 v37, v56, v59
	ds_permute_b32 v42, v56, v60
	;; [unrolled: 1-line block ×8, first 2 shown]
	s_waitcnt lgkmcnt(14)
	v_mov_b32_dpp v21, v55 quad_perm:[0,1,2,3] row_mask:0x3 bank_mask:0xf
	v_mov_b32_dpp v22, v59 quad_perm:[0,1,2,3] row_mask:0x3 bank_mask:0xf
	;; [unrolled: 1-line block ×4, first 2 shown]
	s_waitcnt lgkmcnt(13)
	v_mov_b32_dpp v29, v13 quad_perm:[0,1,2,3] row_mask:0x3 bank_mask:0xf
	ds_permute_b32 v12, v56, v4
	ds_permute_b32 v13, v56, v5
	v_addc_co_u32_e32 v35, vcc, v50, v35, vcc
	v_add_u32_e32 v56, s3, v32
	global_store_dwordx4 v[34:35], v[20:23], off
	s_waitcnt lgkmcnt(11)
	v_mov_b32_dpp v25, v41 quad_perm:[0,1,2,3] row_mask:0x3 bank_mask:0xf
	v_lshlrev_b64 v[20:21], 3, v[56:57]
	v_add_co_u32_e32 v20, vcc, v49, v20
	s_waitcnt lgkmcnt(10)
	v_mov_b32_dpp v27, v36 quad_perm:[0,1,2,3] row_mask:0x3 bank_mask:0xf
	v_addc_co_u32_e32 v21, vcc, v50, v21, vcc
	v_add_u32_e32 v56, s3, v56
	global_store_dwordx4 v[20:21], v[24:27], off
	v_lshlrev_b64 v[20:21], 3, v[56:57]
	v_add_co_u32_e32 v20, vcc, v49, v20
	v_addc_co_u32_e32 v21, vcc, v50, v21, vcc
	v_add_u32_e32 v56, s3, v56
	global_store_dwordx4 v[20:21], v[28:31], off
	v_lshlrev_b64 v[20:21], 3, v[56:57]
	v_add_co_u32_e32 v20, vcc, v49, v20
	s_waitcnt lgkmcnt(1)
	v_mov_b32_dpp v12, v38 quad_perm:[0,1,2,3] row_mask:0x3 bank_mask:0xf
	s_waitcnt lgkmcnt(0)
	v_mov_b32_dpp v13, v39 quad_perm:[0,1,2,3] row_mask:0x3 bank_mask:0xf
	v_addc_co_u32_e32 v21, vcc, v50, v21, vcc
	v_add_u32_e32 v56, s3, v56
	global_store_dwordx4 v[20:21], v[12:15], off
	v_mov_b32_dpp v10, v37 quad_perm:[0,1,2,3] row_mask:0x3 bank_mask:0xf
	v_lshlrev_b64 v[12:13], 3, v[56:57]
	v_add_co_u32_e32 v12, vcc, v49, v12
	v_mov_b32_dpp v11, v42 quad_perm:[0,1,2,3] row_mask:0x3 bank_mask:0xf
	v_addc_co_u32_e32 v13, vcc, v50, v13, vcc
	v_add_u32_e32 v56, s3, v56
	global_store_dwordx4 v[12:13], v[8:11], off
	v_mov_b32_dpp v16, v43 quad_perm:[0,1,2,3] row_mask:0x3 bank_mask:0xf
	v_lshlrev_b64 v[8:9], 3, v[56:57]
	v_add_co_u32_e32 v8, vcc, v49, v8
	v_mov_b32_dpp v17, v44 quad_perm:[0,1,2,3] row_mask:0x3 bank_mask:0xf
	v_mov_b32_dpp v18, v45 quad_perm:[0,1,2,3] row_mask:0x3 bank_mask:0xf
	v_mov_b32_dpp v19, v46 quad_perm:[0,1,2,3] row_mask:0x3 bank_mask:0xf
	v_addc_co_u32_e32 v9, vcc, v50, v9, vcc
	v_add_u32_e32 v56, s3, v56
	global_store_dwordx4 v[8:9], v[16:19], off
	v_lshlrev_b64 v[8:9], 3, v[56:57]
	v_add_co_u32_e32 v8, vcc, v49, v8
	v_mov_b32_dpp v0, v47 quad_perm:[0,1,2,3] row_mask:0x3 bank_mask:0xf
	v_mov_b32_dpp v1, v48 quad_perm:[0,1,2,3] row_mask:0x3 bank_mask:0xf
	;; [unrolled: 1-line block ×4, first 2 shown]
	v_addc_co_u32_e32 v9, vcc, v50, v9, vcc
	v_add_u32_e32 v56, s3, v56
	global_store_dwordx4 v[8:9], v[0:3], off
	v_mov_b32_dpp v4, v58 quad_perm:[0,1,2,3] row_mask:0x3 bank_mask:0xf
	v_lshlrev_b64 v[0:1], 3, v[56:57]
	v_add_co_u32_e32 v0, vcc, v49, v0
	v_mov_b32_dpp v5, v61 quad_perm:[0,1,2,3] row_mask:0x3 bank_mask:0xf
	v_mov_b32_dpp v6, v54 quad_perm:[0,1,2,3] row_mask:0x3 bank_mask:0xf
	;; [unrolled: 1-line block ×3, first 2 shown]
	v_addc_co_u32_e32 v1, vcc, v50, v1, vcc
	global_store_dwordx4 v[0:1], v[4:7], off
.LBB0_5:
	s_endpgm
	.section	.rodata,"a",@progbits
	.p2align	6, 0x0
	.amdhsa_kernel _Z14gemm_rocwmma_djjjPKdS0_S0_Pdjjjjdd
		.amdhsa_group_segment_fixed_size 0
		.amdhsa_private_segment_fixed_size 0
		.amdhsa_kernarg_size 80
		.amdhsa_user_sgpr_count 6
		.amdhsa_user_sgpr_private_segment_buffer 1
		.amdhsa_user_sgpr_dispatch_ptr 0
		.amdhsa_user_sgpr_queue_ptr 0
		.amdhsa_user_sgpr_kernarg_segment_ptr 1
		.amdhsa_user_sgpr_dispatch_id 0
		.amdhsa_user_sgpr_flat_scratch_init 0
		.amdhsa_user_sgpr_kernarg_preload_length 0
		.amdhsa_user_sgpr_kernarg_preload_offset 0
		.amdhsa_user_sgpr_private_segment_size 0
		.amdhsa_uses_dynamic_stack 0
		.amdhsa_system_sgpr_private_segment_wavefront_offset 0
		.amdhsa_system_sgpr_workgroup_id_x 1
		.amdhsa_system_sgpr_workgroup_id_y 1
		.amdhsa_system_sgpr_workgroup_id_z 0
		.amdhsa_system_sgpr_workgroup_info 0
		.amdhsa_system_vgpr_workitem_id 1
		.amdhsa_next_free_vgpr 124
		.amdhsa_next_free_sgpr 22
		.amdhsa_accum_offset 92
		.amdhsa_reserve_vcc 1
		.amdhsa_reserve_flat_scratch 0
		.amdhsa_float_round_mode_32 0
		.amdhsa_float_round_mode_16_64 0
		.amdhsa_float_denorm_mode_32 3
		.amdhsa_float_denorm_mode_16_64 3
		.amdhsa_dx10_clamp 1
		.amdhsa_ieee_mode 1
		.amdhsa_fp16_overflow 0
		.amdhsa_tg_split 0
		.amdhsa_exception_fp_ieee_invalid_op 0
		.amdhsa_exception_fp_denorm_src 0
		.amdhsa_exception_fp_ieee_div_zero 0
		.amdhsa_exception_fp_ieee_overflow 0
		.amdhsa_exception_fp_ieee_underflow 0
		.amdhsa_exception_fp_ieee_inexact 0
		.amdhsa_exception_int_div_zero 0
	.end_amdhsa_kernel
	.text
.Lfunc_end0:
	.size	_Z14gemm_rocwmma_djjjPKdS0_S0_Pdjjjjdd, .Lfunc_end0-_Z14gemm_rocwmma_djjjPKdS0_S0_Pdjjjjdd
                                        ; -- End function
	.section	.AMDGPU.csdata,"",@progbits
; Kernel info:
; codeLenInByte = 5452
; NumSgprs: 26
; NumVgprs: 91
; NumAgprs: 32
; TotalNumVgprs: 124
; ScratchSize: 0
; MemoryBound: 0
; FloatMode: 240
; IeeeMode: 1
; LDSByteSize: 0 bytes/workgroup (compile time only)
; SGPRBlocks: 3
; VGPRBlocks: 15
; NumSGPRsForWavesPerEU: 26
; NumVGPRsForWavesPerEU: 124
; AccumOffset: 92
; Occupancy: 4
; WaveLimiterHint : 0
; COMPUTE_PGM_RSRC2:SCRATCH_EN: 0
; COMPUTE_PGM_RSRC2:USER_SGPR: 6
; COMPUTE_PGM_RSRC2:TRAP_HANDLER: 0
; COMPUTE_PGM_RSRC2:TGID_X_EN: 1
; COMPUTE_PGM_RSRC2:TGID_Y_EN: 1
; COMPUTE_PGM_RSRC2:TGID_Z_EN: 0
; COMPUTE_PGM_RSRC2:TIDIG_COMP_CNT: 1
; COMPUTE_PGM_RSRC3_GFX90A:ACCUM_OFFSET: 22
; COMPUTE_PGM_RSRC3_GFX90A:TG_SPLIT: 0
	.text
	.p2alignl 6, 3212836864
	.fill 256, 4, 3212836864
	.type	__hip_cuid_5c7b4f9e6156af43,@object ; @__hip_cuid_5c7b4f9e6156af43
	.section	.bss,"aw",@nobits
	.globl	__hip_cuid_5c7b4f9e6156af43
__hip_cuid_5c7b4f9e6156af43:
	.byte	0                               ; 0x0
	.size	__hip_cuid_5c7b4f9e6156af43, 1

	.ident	"AMD clang version 19.0.0git (https://github.com/RadeonOpenCompute/llvm-project roc-6.4.0 25133 c7fe45cf4b819c5991fe208aaa96edf142730f1d)"
	.section	".note.GNU-stack","",@progbits
	.addrsig
	.addrsig_sym __hip_cuid_5c7b4f9e6156af43
	.amdgpu_metadata
---
amdhsa.kernels:
  - .agpr_count:     32
    .args:
      - .offset:         0
        .size:           4
        .value_kind:     by_value
      - .offset:         4
        .size:           4
        .value_kind:     by_value
      - .offset:         8
        .size:           4
        .value_kind:     by_value
      - .address_space:  global
        .offset:         16
        .size:           8
        .value_kind:     global_buffer
      - .address_space:  global
        .offset:         24
        .size:           8
        .value_kind:     global_buffer
      - .address_space:  global
        .offset:         32
        .size:           8
        .value_kind:     global_buffer
      - .address_space:  global
        .offset:         40
        .size:           8
        .value_kind:     global_buffer
      - .offset:         48
        .size:           4
        .value_kind:     by_value
      - .offset:         52
        .size:           4
        .value_kind:     by_value
      - .offset:         56
        .size:           4
        .value_kind:     by_value
      - .offset:         60
        .size:           4
        .value_kind:     by_value
      - .offset:         64
        .size:           8
        .value_kind:     by_value
      - .offset:         72
        .size:           8
        .value_kind:     by_value
    .group_segment_fixed_size: 0
    .kernarg_segment_align: 8
    .kernarg_segment_size: 80
    .language:       OpenCL C
    .language_version:
      - 2
      - 0
    .max_flat_workgroup_size: 256
    .name:           _Z14gemm_rocwmma_djjjPKdS0_S0_Pdjjjjdd
    .private_segment_fixed_size: 0
    .sgpr_count:     26
    .sgpr_spill_count: 0
    .symbol:         _Z14gemm_rocwmma_djjjPKdS0_S0_Pdjjjjdd.kd
    .uniform_work_group_size: 1
    .uses_dynamic_stack: false
    .vgpr_count:     124
    .vgpr_spill_count: 0
    .wavefront_size: 64
amdhsa.target:   amdgcn-amd-amdhsa--gfx90a
amdhsa.version:
  - 1
  - 2
...

	.end_amdgpu_metadata
